;; amdgpu-corpus repo=zjin-lcf/HeCBench kind=compiled arch=gfx950 opt=O3
	.amdgcn_target "amdgcn-amd-amdhsa--gfx950"
	.amdhsa_code_object_version 6
	.text
	.protected	_Z13parallelMatchPcPKjiS_S1_PhP5State ; -- Begin function _Z13parallelMatchPcPKjiS_S1_PhP5State
	.globl	_Z13parallelMatchPcPKjiS_S1_PhP5State
	.p2align	8
	.type	_Z13parallelMatchPcPKjiS_S1_PhP5State,@function
_Z13parallelMatchPcPKjiS_S1_PhP5State:  ; @_Z13parallelMatchPcPKjiS_S1_PhP5State
; %bb.0:
	s_load_dwordx8 s[4:11], s[0:1], 0x18
	v_cmp_eq_u32_e32 vcc, 0, v0
	s_and_saveexec_b64 s[12:13], vcc
	s_cbranch_execz .LBB0_151
; %bb.1:
	s_waitcnt lgkmcnt(0)
	s_load_dword s3, s[6:7], 0x0
	s_waitcnt lgkmcnt(0)
	v_mov_b32_e32 v1, s3
	global_load_ubyte v2, v1, s[4:5]
	s_add_u32 s6, s4, s3
	v_mov_b32_e32 v1, 0
	s_addc_u32 s7, s5, 0
	s_waitcnt vmcnt(0)
	v_cmp_eq_u32_sdwa s[4:5], v2, v1 src0_sel:WORD_0 src1_sel:DWORD
	s_and_b64 vcc, exec, s[4:5]
	v_readfirstlane_b32 s28, v2
	s_cbranch_vccnz .LBB0_58
; %bb.2:
	s_mov_b64 s[4:5], 1
.LBB0_3:                                ; =>This Inner Loop Header: Depth=1
	s_add_u32 s14, s6, s4
	s_addc_u32 s15, s7, s5
	global_load_ubyte v2, v1, s[14:15]
	s_add_u32 s4, s4, 1
	s_addc_u32 s5, s5, 0
	s_waitcnt vmcnt(0)
	v_cmp_ne_u32_e32 vcc, 0, v2
	s_cbranch_vccnz .LBB0_3
; %bb.4:
	s_add_i32 s3, s4, -2
	s_cmpk_lt_u32 s3, 0xf9f
	s_cselect_b64 s[4:5], -1, 0
	s_and_b64 vcc, exec, s[4:5]
	s_cbranch_vccnz .LBB0_59
.LBB0_5:
.LBB0_6:
	v_mov_b32_e32 v10, 0
	s_mov_b32 s18, 16
	s_mov_b32 s4, 0
	v_mov_b32_e32 v12, 0
	v_mov_b32_e32 v13, v10
	;; [unrolled: 1-line block ×3, first 2 shown]
	v_bfrev_b32_e32 v14, 4.0
	v_mov_b32_e32 v16, 0x101
	s_mov_b32 s21, 0
	s_mov_b32 s20, 0
	s_branch .LBB0_8
.LBB0_7:                                ;   in Loop: Header=BB0_8 Depth=1
	s_andn2_b64 vcc, exec, s[14:15]
	s_cbranch_vccz .LBB0_53
.LBB0_8:                                ; =>This Loop Header: Depth=1
                                        ;     Child Loop BB0_14 Depth 2
                                        ;     Child Loop BB0_33 Depth 2
	;; [unrolled: 1-line block ×5, first 2 shown]
	v_mov_b32_e32 v2, s20
	ds_read_u8 v11, v2
	s_mov_b32 s3, s18
	s_waitcnt lgkmcnt(0)
	v_cmp_lt_i32_sdwa s[6:7], v11, v1 src0_sel:WORD_0 src1_sel:DWORD
	s_and_b64 vcc, exec, s[6:7]
	v_readfirstlane_b32 s22, v11
	s_cbranch_vccnz .LBB0_16
; %bb.9:                                ;   in Loop: Header=BB0_8 Depth=1
	s_and_b32 s23, 0xffff, s22
	s_cmp_lt_i32 s23, 21
	s_mov_b64 s[16:17], -1
	s_mov_b64 s[6:7], 0
	s_mov_b64 s[14:15], 0
                                        ; implicit-def: $sgpr18
                                        ; implicit-def: $sgpr19
	s_cbranch_scc1 .LBB0_23
; %bb.10:                               ;   in Loop: Header=BB0_8 Depth=1
	s_cmp_gt_i32 s23, 26
	s_cbranch_scc0 .LBB0_18
; %bb.11:                               ;   in Loop: Header=BB0_8 Depth=1
	s_cmp_eq_u32 s23, 27
	s_mov_b64 s[14:15], -1
                                        ; implicit-def: $sgpr18
	s_cbranch_scc0 .LBB0_19
; %bb.12:                               ;   in Loop: Header=BB0_8 Depth=1
	s_add_i32 s5, s3, 0xffffffe0
	s_add_i32 s18, s3, -16
	scratch_load_dwordx4 v[2:5], off, s5
	scratch_load_dwordx4 v[6:9], off, s18
	s_waitcnt vmcnt(0)
	v_cmp_ne_u64_e32 vcc, 0, v[4:5]
	s_and_saveexec_b64 s[14:15], vcc
	s_cbranch_execz .LBB0_15
; %bb.13:                               ;   in Loop: Header=BB0_8 Depth=1
	s_mov_b64 s[16:17], 0
.LBB0_14:                               ;   Parent Loop BB0_8 Depth=1
                                        ; =>  This Inner Loop Header: Depth=2
	flat_load_dwordx2 v[18:19], v[4:5]
	s_waitcnt vmcnt(0) lgkmcnt(0)
	v_cmp_eq_u64_e32 vcc, 0, v[18:19]
	flat_store_dwordx2 v[4:5], v[6:7]
	s_or_b64 s[16:17], vcc, s[16:17]
	v_mov_b64_e32 v[4:5], v[18:19]
	s_andn2_b64 exec, exec, s[16:17]
	s_cbranch_execnz .LBB0_14
.LBB0_15:                               ;   in Loop: Header=BB0_8 Depth=1
	s_or_b64 exec, exec, s[14:15]
	s_sub_i32 s5, s3, 32
	s_waitcnt vmcnt(0)
	v_mov_b32_e32 v4, v8
	v_mov_b32_e32 v5, v9
	scratch_store_dwordx4 off, v[2:5], s5
	s_mov_b64 s[14:15], 0
	s_mov_b32 s19, s21
	s_branch .LBB0_22
.LBB0_16:                               ;   in Loop: Header=BB0_8 Depth=1
	s_mov_b64 s[6:7], 0
                                        ; implicit-def: $sgpr18
                                        ; implicit-def: $sgpr19
	s_branch .LBB0_40
.LBB0_17:                               ;   in Loop: Header=BB0_8 Depth=1
	s_mov_b32 s21, s19
	s_mov_b64 s[14:15], -1
	s_and_b64 vcc, exec, s[6:7]
	s_cbranch_vccz .LBB0_7
	s_branch .LBB0_52
.LBB0_18:                               ;   in Loop: Header=BB0_8 Depth=1
                                        ; implicit-def: $sgpr18
	s_and_b64 vcc, exec, s[16:17]
	s_mov_b32 s19, s21
	s_cbranch_vccnz .LBB0_20
	s_branch .LBB0_22
.LBB0_19:                               ;   in Loop: Header=BB0_8 Depth=1
	s_mov_b32 s19, s21
	s_branch .LBB0_22
.LBB0_20:                               ;   in Loop: Header=BB0_8 Depth=1
	s_cmp_eq_u32 s23, 21
	s_mov_b64 s[14:15], -1
                                        ; implicit-def: $sgpr18
                                        ; implicit-def: $sgpr19
	s_cbranch_scc0 .LBB0_22
; %bb.21:                               ;   in Loop: Header=BB0_8 Depth=1
	s_mul_i32 s5, s21, 40
	s_mov_b64 s[14:15], src_shared_base
	v_mov_b32_e32 v2, s5
	s_add_i32 s14, s5, 0x1f40
	v_mov_b32_e32 v15, s21
	s_add_i32 s18, s5, 0x1f48
	v_add_u32_e32 v3, 0x1800, v2
	s_mov_b32 s5, s4
	s_mov_b32 s16, s4
	;; [unrolled: 1-line block ×3, first 2 shown]
	ds_write_b32 v2, v10 offset:8032
	ds_write2_b64 v3, v[14:15], v[12:13] offset0:232 offset1:235
	ds_write_b8 v2, v10 offset:8036
	v_mov_b32_e32 v4, s18
	v_mov_b64_e32 v[2:3], s[4:5]
	v_mov_b64_e32 v[6:7], s[16:17]
	ds_write2_b64 v4, v[2:3], v[6:7] offset1:1
	v_mov_b32_e32 v2, s14
	v_mov_b32_e32 v3, s15
	;; [unrolled: 1-line block ×3, first 2 shown]
	s_add_i32 s19, s21, 1
	s_add_i32 s18, s3, 16
	scratch_store_dwordx4 off, v[2:5], s3
	s_mov_b64 s[14:15], 0
.LBB0_22:                               ;   in Loop: Header=BB0_8 Depth=1
	s_mov_b64 s[16:17], 0
.LBB0_23:                               ;   in Loop: Header=BB0_8 Depth=1
	s_and_b64 vcc, exec, s[16:17]
	s_cbranch_vccz .LBB0_26
; %bb.24:                               ;   in Loop: Header=BB0_8 Depth=1
	s_cmp_gt_i32 s23, 3
	s_cbranch_scc0 .LBB0_27
; %bb.25:                               ;   in Loop: Header=BB0_8 Depth=1
	s_cmp_lg_u32 s23, 4
	s_mov_b64 s[16:17], -1
	s_mov_b64 s[6:7], 0
	s_cselect_b64 s[14:15], -1, 0
	s_branch .LBB0_28
.LBB0_26:                               ;   in Loop: Header=BB0_8 Depth=1
	s_mov_b64 s[16:17], 0
	s_and_b64 vcc, exec, s[14:15]
	s_cbranch_vccnz .LBB0_29
	s_branch .LBB0_30
.LBB0_27:                               ;   in Loop: Header=BB0_8 Depth=1
	s_mov_b64 s[16:17], 0
	s_mov_b64 s[6:7], -1
.LBB0_28:                               ;   in Loop: Header=BB0_8 Depth=1
	s_add_i32 s18, s3, 16
	s_and_b64 vcc, exec, s[14:15]
	s_cbranch_vccz .LBB0_30
.LBB0_29:                               ;   in Loop: Header=BB0_8 Depth=1
	s_mul_i32 s5, s21, 40
	s_mov_b64 s[14:15], src_shared_base
	v_mov_b32_e32 v4, s5
	v_bfe_i32 v2, v11, 0, 8
	s_add_i32 s14, s5, 0x1f40
	v_mov_b32_e32 v3, s21
	s_add_i32 s23, s5, 0x1f48
	v_add_u32_e32 v5, 0x1800, v4
	s_mov_b32 s5, s4
	s_mov_b32 s16, s4
	;; [unrolled: 1-line block ×3, first 2 shown]
	ds_write_b32 v4, v10 offset:8032
	ds_write2_b64 v5, v[2:3], v[12:13] offset0:232 offset1:235
	ds_write_b8 v4, v10 offset:8036
	v_mov_b32_e32 v4, s23
	v_mov_b64_e32 v[2:3], s[4:5]
	v_mov_b64_e32 v[6:7], s[16:17]
	s_add_i32 s19, s21, 1
	ds_write2_b64 v4, v[2:3], v[6:7] offset1:1
	v_mov_b32_e32 v2, s14
	v_mov_b32_e32 v3, s15
	;; [unrolled: 1-line block ×3, first 2 shown]
	s_mov_b64 s[16:17], 0
	scratch_store_dwordx4 off, v[2:5], s3
.LBB0_30:                               ;   in Loop: Header=BB0_8 Depth=1
	s_andn2_b64 vcc, exec, s[16:17]
	s_cbranch_vccz .LBB0_32
; %bb.31:                               ;   in Loop: Header=BB0_8 Depth=1
	s_and_b64 vcc, exec, s[6:7]
	s_cbranch_vccnz .LBB0_35
	s_branch .LBB0_39
.LBB0_32:                               ;   in Loop: Header=BB0_8 Depth=1
	s_add_i32 s5, s3, 0xffffffe0
	scratch_load_dwordx4 v[2:5], off, s5
	s_add_i32 s5, s3, -16
	scratch_load_dwordx4 v[6:9], off, s5
	s_mul_i32 s17, s21, 40
	s_add_i32 s16, s17, 0x1f40
	v_mov_b32_e32 v11, s17
	s_addk_i32 s17, 0x1f48
	s_add_i32 s18, s3, -16
	s_sub_i32 s5, s3, 32
	v_mov_b32_e32 v17, s21
	s_mov_b64 s[14:15], 0
	ds_write_b32 v11, v10 offset:8032
	v_mov_b32_e32 v15, s17
	v_add_u32_e32 v18, 0x1800, v11
	ds_write_b8 v11, v10 offset:8036
	ds_write2_b64 v18, v[16:17], v[12:13] offset0:232 offset1:235
	s_waitcnt vmcnt(0)
	ds_write2_b64 v15, v[2:3], v[6:7] offset1:1
	v_mov_b64_e32 v[6:7], v[4:5]
.LBB0_33:                               ;   Parent Loop BB0_8 Depth=1
                                        ; =>  This Inner Loop Header: Depth=2
	v_mov_b64_e32 v[2:3], v[6:7]
	flat_load_dwordx2 v[6:7], v[6:7]
	s_waitcnt vmcnt(0) lgkmcnt(0)
	v_cmp_eq_u64_e32 vcc, 0, v[6:7]
	s_or_b64 s[14:15], vcc, s[14:15]
	s_andn2_b64 exec, exec, s[14:15]
	s_cbranch_execnz .LBB0_33
; %bb.34:                               ;   in Loop: Header=BB0_8 Depth=1
	s_or_b64 exec, exec, s[14:15]
	s_mov_b64 s[14:15], src_shared_base
	s_add_i32 s19, s21, 1
	flat_store_dwordx2 v[2:3], v[8:9]
	v_mov_b32_e32 v2, s16
	v_mov_b32_e32 v3, s15
	scratch_store_dwordx4 off, v[2:5], s5
	s_and_b64 vcc, exec, s[6:7]
	s_cbranch_vccz .LBB0_39
.LBB0_35:                               ;   in Loop: Header=BB0_8 Depth=1
	s_add_i32 s5, s3, -16
	scratch_load_dwordx4 v[2:5], off, s5
	s_mov_b64 s[6:7], src_shared_base
	s_mul_i32 s6, s21, 40
	v_mov_b32_e32 v11, v10
	s_add_i32 s14, s6, 0x1f40
	v_mov_b32_e32 v6, s6
	s_addk_i32 s6, 0x1f48
	v_mov_b32_e32 v17, s21
	ds_write_b32 v6, v10 offset:8032
	v_mov_b32_e32 v7, s6
	v_add_u32_e32 v8, 0x1800, v6
	ds_write_b8 v6, v10 offset:8036
	ds_write2_b64 v8, v[16:17], v[12:13] offset0:232 offset1:235
	s_waitcnt vmcnt(0)
	ds_write2_b64 v7, v[2:3], v[10:11] offset1:1
	v_cmp_ne_u64_e32 vcc, 0, v[4:5]
	s_and_saveexec_b64 s[16:17], vcc
	s_cbranch_execz .LBB0_38
; %bb.36:                               ;   in Loop: Header=BB0_8 Depth=1
	s_mov_b32 s15, s7
	s_mov_b64 s[18:19], 0
	v_mov_b64_e32 v[2:3], s[14:15]
.LBB0_37:                               ;   Parent Loop BB0_8 Depth=1
                                        ; =>  This Inner Loop Header: Depth=2
	flat_load_dwordx2 v[6:7], v[4:5]
	s_waitcnt vmcnt(0) lgkmcnt(0)
	v_cmp_eq_u64_e32 vcc, 0, v[6:7]
	flat_store_dwordx2 v[4:5], v[2:3]
	s_or_b64 s[18:19], vcc, s[18:19]
	v_mov_b64_e32 v[4:5], v[6:7]
	s_andn2_b64 exec, exec, s[18:19]
	s_cbranch_execnz .LBB0_37
.LBB0_38:                               ;   in Loop: Header=BB0_8 Depth=1
	s_or_b64 exec, exec, s[16:17]
	s_mov_b64 s[16:17], src_shared_base
	s_add_i32 s6, s14, 16
	s_add_i32 s19, s21, 1
	v_mov_b32_e32 v2, s14
	v_mov_b32_e32 v3, s7
	;; [unrolled: 1-line block ×4, first 2 shown]
	s_mov_b32 s18, s3
	ds_write_b64 v2, v[12:13] offset:16
	scratch_store_dwordx4 off, v[2:5], s5
.LBB0_39:                               ;   in Loop: Header=BB0_8 Depth=1
	s_mov_b64 s[6:7], -1
	s_cbranch_execnz .LBB0_17
.LBB0_40:                               ;   in Loop: Header=BB0_8 Depth=1
	s_and_b32 s5, 0xffff, s22
	s_cmp_gt_i32 s5, 0
                                        ; implicit-def: $sgpr15
	s_cbranch_scc0 .LBB0_51
; %bb.41:                               ;   in Loop: Header=BB0_8 Depth=1
	s_mov_b64 s[6:7], -1
	s_cmp_gt_i32 s5, 1
	s_mul_i32 s5, s21, 40
                                        ; implicit-def: $sgpr15
	s_cbranch_scc0 .LBB0_45
; %bb.42:                               ;   in Loop: Header=BB0_8 Depth=1
	s_add_i32 s14, s3, -16
	scratch_load_dwordx4 v[2:5], off, s14
	v_mov_b32_e32 v6, s5
	v_mov_b32_e32 v17, s21
	s_add_i32 s15, s5, 0x1f48
	v_add_u32_e32 v7, 0x1800, v6
	s_add_i32 s16, s5, 0x1f40
	v_mov_b32_e32 v11, v10
	s_mov_b64 s[6:7], 0
	ds_write_b32 v6, v10 offset:8032
	ds_write_b8 v6, v10 offset:8036
	v_mov_b32_e32 v6, s15
	ds_write2_b64 v7, v[16:17], v[12:13] offset0:232 offset1:235
	s_waitcnt vmcnt(0)
	ds_write2_b64 v6, v[2:3], v[10:11] offset1:1
	v_mov_b64_e32 v[2:3], v[4:5]
.LBB0_43:                               ;   Parent Loop BB0_8 Depth=1
                                        ; =>  This Inner Loop Header: Depth=2
	v_mov_b64_e32 v[6:7], v[2:3]
	flat_load_dwordx2 v[2:3], v[2:3]
	s_waitcnt vmcnt(0) lgkmcnt(0)
	v_cmp_eq_u64_e32 vcc, 0, v[2:3]
	s_or_b64 s[6:7], vcc, s[6:7]
	s_andn2_b64 exec, exec, s[6:7]
	s_cbranch_execnz .LBB0_43
; %bb.44:                               ;   in Loop: Header=BB0_8 Depth=1
	s_or_b64 exec, exec, s[6:7]
	s_mov_b64 s[6:7], src_shared_base
	s_add_i32 s6, s16, 16
	v_mov_b32_e32 v2, s6
	v_mov_b32_e32 v3, s7
	flat_store_dwordx2 v[6:7], v[2:3]
	v_mov_b32_e32 v2, s16
	s_add_i32 s15, s21, 1
	scratch_store_dwordx4 off, v[2:5], s14
	s_mov_b64 s[6:7], 0
.LBB0_45:                               ;   in Loop: Header=BB0_8 Depth=1
	s_and_b64 vcc, exec, s[6:7]
	s_cbranch_vccz .LBB0_50
; %bb.46:                               ;   in Loop: Header=BB0_8 Depth=1
	s_add_i32 s18, s3, -16
	scratch_load_dwordx4 v[2:5], off, s18
	v_mov_b32_e32 v6, s5
	s_add_i32 s6, s5, 0x1f40
	s_addk_i32 s5, 0x1f48
	v_add_u32_e32 v7, 0x1800, v6
	v_mov_b32_e32 v17, s21
	v_mov_b32_e32 v11, v10
	ds_write_b32 v6, v10 offset:8032
	v_mov_b32_e32 v8, s5
	ds_write_b8 v6, v10 offset:8036
	ds_write2_b64 v7, v[16:17], v[12:13] offset0:232 offset1:235
	s_waitcnt vmcnt(0)
	v_mov_b32_e32 v6, v2
	v_mov_b32_e32 v7, v3
	v_cmp_ne_u64_e32 vcc, 0, v[4:5]
	ds_write2_b64 v8, v[6:7], v[10:11] offset1:1
	s_and_saveexec_b64 s[14:15], vcc
	s_cbranch_execz .LBB0_49
; %bb.47:                               ;   in Loop: Header=BB0_8 Depth=1
	s_mov_b64 s[16:17], src_shared_base
	s_mov_b32 s7, s17
	s_mov_b64 s[16:17], 0
	v_mov_b64_e32 v[6:7], s[6:7]
.LBB0_48:                               ;   Parent Loop BB0_8 Depth=1
                                        ; =>  This Inner Loop Header: Depth=2
	flat_load_dwordx2 v[8:9], v[4:5]
	s_waitcnt vmcnt(0) lgkmcnt(0)
	v_cmp_eq_u64_e32 vcc, 0, v[8:9]
	flat_store_dwordx2 v[4:5], v[6:7]
	s_or_b64 s[16:17], vcc, s[16:17]
	v_mov_b64_e32 v[4:5], v[8:9]
	s_andn2_b64 exec, exec, s[16:17]
	s_cbranch_execnz .LBB0_48
.LBB0_49:                               ;   in Loop: Header=BB0_8 Depth=1
	s_or_b64 exec, exec, s[14:15]
	s_mov_b64 s[16:17], src_shared_base
	s_add_i32 s5, s6, 16
	v_mov_b32_e32 v4, s6
	s_add_i32 s15, s21, 1
	ds_write_b64 v4, v[12:13] offset:16
	v_mov_b32_e32 v4, s5
	v_mov_b32_e32 v5, s17
	scratch_store_dwordx4 off, v[2:5], s18
.LBB0_50:                               ;   in Loop: Header=BB0_8 Depth=1
	s_mov_b64 s[6:7], -1
.LBB0_51:                               ;   in Loop: Header=BB0_8 Depth=1
	s_mov_b32 s18, s3
	s_mov_b32 s21, s15
	s_mov_b64 s[14:15], -1
	s_and_b64 vcc, exec, s[6:7]
	s_cbranch_vccz .LBB0_7
.LBB0_52:                               ;   in Loop: Header=BB0_8 Depth=1
	s_add_i32 s20, s20, 1
	s_mov_b64 s[14:15], 0
	s_branch .LBB0_7
.LBB0_53:
	s_add_i32 s4, s3, -16
	s_cmp_lg_u32 s4, 16
	v_mov_b64_e32 v[2:3], 0
	s_cbranch_scc1 .LBB0_150
; %bb.54:
	s_add_i32 s3, s3, -8
	scratch_load_dwordx2 v[4:5], off, s3
	scratch_load_dwordx2 v[2:3], off, off offset:16
	s_mov_b64 s[4:5], 0
	s_waitcnt vmcnt(0)
	v_cmp_ne_u64_e32 vcc, 0, v[4:5]
	s_and_saveexec_b64 s[6:7], vcc
	s_cbranch_execz .LBB0_57
; %bb.55:
	v_mov_b64_e32 v[6:7], s[10:11]
.LBB0_56:                               ; =>This Inner Loop Header: Depth=1
	flat_load_dwordx2 v[8:9], v[4:5]
	s_waitcnt vmcnt(0) lgkmcnt(0)
	v_cmp_eq_u64_e32 vcc, 0, v[8:9]
	flat_store_dwordx2 v[4:5], v[6:7]
	s_or_b64 s[4:5], vcc, s[4:5]
	v_mov_b64_e32 v[4:5], v[8:9]
	s_andn2_b64 exec, exec, s[4:5]
	s_cbranch_execnz .LBB0_56
.LBB0_57:
	s_or_b64 exec, exec, s[6:7]
	s_branch .LBB0_150
.LBB0_58:
	s_cbranch_execz .LBB0_5
.LBB0_59:
	v_mov_b32_e32 v4, 0x1b1b1b1b
	v_mov_b32_e32 v6, 0x4040404
	;; [unrolled: 1-line block ×3, first 2 shown]
	s_mov_b64 s[14:15], 0
	v_mov_b32_e32 v12, 27
	v_mov_b32_e32 v13, 4
	s_movk_i32 s3, 0x320
	v_mov_b32_e32 v5, v4
	v_mov_b32_e32 v7, v6
	;; [unrolled: 1-line block ×6, first 2 shown]
                                        ; implicit-def: $sgpr16_sgpr17
	s_branch .LBB0_61
.LBB0_60:                               ;   in Loop: Header=BB0_61 Depth=1
	s_or_b64 exec, exec, s[22:23]
	s_and_b64 s[4:5], exec, s[4:5]
	s_or_b64 s[14:15], s[4:5], s[14:15]
	s_andn2_b64 s[4:5], s[16:17], exec
	s_and_b64 s[16:17], s[18:19], exec
	s_or_b64 s[16:17], s[4:5], s[16:17]
	s_andn2_b64 exec, exec, s[14:15]
	s_cbranch_execz .LBB0_124
.LBB0_61:                               ; =>This Loop Header: Depth=1
                                        ;     Child Loop BB0_106 Depth 2
                                        ;     Child Loop BB0_110 Depth 2
	;; [unrolled: 1-line block ×6, first 2 shown]
	s_and_b32 s29, s28, 0xff
	s_mov_b64 s[18:19], -1
	s_mov_b64 s[20:21], 0
	s_cmp_lt_i32 s29, 4
	s_mov_b64 s[4:5], -1
                                        ; implicit-def: $vgpr17
                                        ; implicit-def: $vgpr9
                                        ; implicit-def: $vgpr8
                                        ; implicit-def: $vgpr15
	s_cbranch_scc1 .LBB0_116
; %bb.62:                               ;   in Loop: Header=BB0_61 Depth=1
	s_and_b32 s4, 0xffff, s29
	s_cmp_gt_i32 s4, 4
	s_cbranch_scc0 .LBB0_69
; %bb.63:                               ;   in Loop: Header=BB0_61 Depth=1
	s_cmp_gt_i32 s4, 5
	v_add_u32_e32 v16, 16, v14
	s_cbranch_scc0 .LBB0_70
; %bb.64:                               ;   in Loop: Header=BB0_61 Depth=1
	s_cmp_lg_u32 s4, 6
	s_cbranch_scc0 .LBB0_71
; %bb.65:                               ;   in Loop: Header=BB0_61 Depth=1
	v_cmp_lt_i32_e32 vcc, 1, v10
	v_mov_b32_e32 v8, v1
	v_mov_b32_e32 v3, v10
	s_and_saveexec_b64 s[4:5], vcc
; %bb.66:                               ;   in Loop: Header=BB0_61 Depth=1
	v_add_u32_e32 v3, -1, v10
	v_add_u32_e32 v8, 1, v1
	ds_write_b8 v1, v12
; %bb.67:                               ;   in Loop: Header=BB0_61 Depth=1
	s_or_b64 exec, exec, s[4:5]
	v_mov_b32_e32 v9, s28
	v_add_u32_e32 v15, 1, v8
	ds_write_b8 v8, v9
	v_add_u32_e32 v9, 1, v3
	s_mov_b64 s[20:21], -1
.LBB0_68:                               ;   in Loop: Header=BB0_61 Depth=1
	v_mov_b32_e32 v17, v14
	v_mov_b32_e32 v8, v2
	s_branch .LBB0_95
.LBB0_69:                               ;   in Loop: Header=BB0_61 Depth=1
                                        ; implicit-def: $vgpr17
                                        ; implicit-def: $vgpr9
                                        ; implicit-def: $vgpr8
                                        ; implicit-def: $vgpr15
	s_cbranch_execnz .LBB0_102
	s_branch .LBB0_115
.LBB0_70:                               ;   in Loop: Header=BB0_61 Depth=1
                                        ; implicit-def: $vgpr17
                                        ; implicit-def: $vgpr9
                                        ; implicit-def: $vgpr8
                                        ; implicit-def: $vgpr15
	s_cbranch_execnz .LBB0_96
	s_branch .LBB0_101
.LBB0_71:                               ;   in Loop: Header=BB0_61 Depth=1
                                        ; implicit-def: $vgpr9
                                        ; implicit-def: $vgpr15
	s_cbranch_execz .LBB0_68
; %bb.72:                               ;   in Loop: Header=BB0_61 Depth=1
	v_cmp_ne_u32_e32 vcc, 0, v14
	v_cmp_ne_u32_e64 s[4:5], 0, v10
	s_and_b64 s[22:23], vcc, s[4:5]
	v_mov_b32_e32 v17, v14
	v_mov_b32_e32 v9, v10
	;; [unrolled: 1-line block ×4, first 2 shown]
	s_and_saveexec_b64 s[4:5], s[22:23]
	s_cbranch_execz .LBB0_94
; %bb.73:                               ;   in Loop: Header=BB0_61 Depth=1
	v_cmp_lt_i32_e32 vcc, 1, v10
	v_mov_b32_e32 v15, v1
	s_and_saveexec_b64 s[22:23], vcc
	s_cbranch_execz .LBB0_83
; %bb.74:                               ;   in Loop: Header=BB0_61 Depth=1
	v_cmp_lt_u32_e32 vcc, 8, v10
	s_mov_b64 s[26:27], -1
	v_mov_b32_e32 v15, v1
	v_mov_b32_e32 v3, v10
	s_and_saveexec_b64 s[24:25], vcc
	s_cbranch_execz .LBB0_78
; %bb.75:                               ;   in Loop: Header=BB0_61 Depth=1
	v_add_u32_e32 v8, -1, v10
	v_and_b32_e32 v9, -8, v8
	s_mov_b64 s[26:27], 0
	v_mov_b32_e32 v3, v1
	v_mov_b32_e32 v15, v9
.LBB0_76:                               ;   Parent Loop BB0_61 Depth=1
                                        ; =>  This Inner Loop Header: Depth=2
	v_add_u32_e32 v15, -8, v15
	v_cmp_eq_u32_e32 vcc, 0, v15
	ds_write_b64 v3, v[4:5]
	s_or_b64 s[26:27], vcc, s[26:27]
	v_add_u32_e32 v3, 8, v3
	s_andn2_b64 exec, exec, s[26:27]
	s_cbranch_execnz .LBB0_76
; %bb.77:                               ;   in Loop: Header=BB0_61 Depth=1
	s_or_b64 exec, exec, s[26:27]
	v_cmp_ne_u32_e32 vcc, v8, v9
	v_sub_u32_e32 v3, v10, v9
	v_add_u32_e32 v15, v1, v9
	s_orn2_b64 s[26:27], vcc, exec
.LBB0_78:                               ;   in Loop: Header=BB0_61 Depth=1
	s_or_b64 exec, exec, s[24:25]
	s_and_saveexec_b64 s[24:25], s[26:27]
	s_cbranch_execz .LBB0_82
; %bb.79:                               ;   in Loop: Header=BB0_61 Depth=1
	v_add_u32_e32 v3, 1, v3
	s_mov_b64 s[26:27], 0
.LBB0_80:                               ;   Parent Loop BB0_61 Depth=1
                                        ; =>  This Inner Loop Header: Depth=2
	v_add_u32_e32 v3, -1, v3
	v_mov_b32_e32 v8, v15
	v_cmp_gt_u32_e32 vcc, 3, v3
	v_add_u32_e32 v15, 1, v8
	s_or_b64 s[26:27], vcc, s[26:27]
	ds_write_b8 v8, v12
	s_andn2_b64 exec, exec, s[26:27]
	s_cbranch_execnz .LBB0_80
; %bb.81:                               ;   in Loop: Header=BB0_61 Depth=1
	s_or_b64 exec, exec, s[26:27]
.LBB0_82:                               ;   in Loop: Header=BB0_61 Depth=1
	s_or_b64 exec, exec, s[24:25]
.LBB0_83:                               ;   in Loop: Header=BB0_61 Depth=1
	s_or_b64 exec, exec, s[22:23]
	v_cmp_lt_i32_e32 vcc, 0, v2
	s_and_saveexec_b64 s[22:23], vcc
	s_cbranch_execz .LBB0_93
; %bb.84:                               ;   in Loop: Header=BB0_61 Depth=1
	v_cmp_lt_u32_e32 vcc, 7, v2
	s_mov_b64 s[26:27], -1
	v_mov_b32_e32 v3, v2
	s_and_saveexec_b64 s[24:25], vcc
	s_cbranch_execz .LBB0_88
; %bb.85:                               ;   in Loop: Header=BB0_61 Depth=1
	v_and_b32_e32 v8, 0x7ffffff8, v2
	s_mov_b64 s[26:27], 0
	v_mov_b32_e32 v3, v15
	v_mov_b32_e32 v9, v8
.LBB0_86:                               ;   Parent Loop BB0_61 Depth=1
                                        ; =>  This Inner Loop Header: Depth=2
	v_add_u32_e32 v9, -8, v9
	v_cmp_eq_u32_e32 vcc, 0, v9
	ds_write_b64 v3, v[6:7]
	s_or_b64 s[26:27], vcc, s[26:27]
	v_add_u32_e32 v3, 8, v3
	s_andn2_b64 exec, exec, s[26:27]
	s_cbranch_execnz .LBB0_86
; %bb.87:                               ;   in Loop: Header=BB0_61 Depth=1
	s_or_b64 exec, exec, s[26:27]
	v_cmp_ne_u32_e32 vcc, v2, v8
	v_and_b32_e32 v3, 7, v2
	v_add_u32_e32 v15, v15, v8
	s_orn2_b64 s[26:27], vcc, exec
.LBB0_88:                               ;   in Loop: Header=BB0_61 Depth=1
	s_or_b64 exec, exec, s[24:25]
	s_and_saveexec_b64 s[24:25], s[26:27]
	s_cbranch_execz .LBB0_92
; %bb.89:                               ;   in Loop: Header=BB0_61 Depth=1
	v_add_u32_e32 v3, 1, v3
	s_mov_b64 s[26:27], 0
.LBB0_90:                               ;   Parent Loop BB0_61 Depth=1
                                        ; =>  This Inner Loop Header: Depth=2
	v_add_u32_e32 v3, -1, v3
	v_mov_b32_e32 v8, v15
	v_cmp_gt_u32_e32 vcc, 2, v3
	v_add_u32_e32 v15, 1, v8
	s_or_b64 s[26:27], vcc, s[26:27]
	ds_write_b8 v8, v13
	s_andn2_b64 exec, exec, s[26:27]
	s_cbranch_execnz .LBB0_90
; %bb.91:                               ;   in Loop: Header=BB0_61 Depth=1
	s_or_b64 exec, exec, s[26:27]
.LBB0_92:                               ;   in Loop: Header=BB0_61 Depth=1
	s_or_b64 exec, exec, s[24:25]
.LBB0_93:                               ;   in Loop: Header=BB0_61 Depth=1
	s_or_b64 exec, exec, s[22:23]
	v_add_u32_e32 v3, -8, v16
	scratch_load_dwordx2 v[8:9], v3, off
	v_add_u32_e32 v17, -8, v14
	s_or_b64 s[20:21], s[20:21], exec
	s_waitcnt vmcnt(0)
	v_add_u32_e32 v9, 1, v9
.LBB0_94:                               ;   in Loop: Header=BB0_61 Depth=1
	s_or_b64 exec, exec, s[4:5]
.LBB0_95:                               ;   in Loop: Header=BB0_61 Depth=1
	s_branch .LBB0_101
.LBB0_96:                               ;   in Loop: Header=BB0_61 Depth=1
	v_cmp_lt_i32_e32 vcc, 1, v10
	v_mov_b32_e32 v18, v1
	v_mov_b32_e32 v3, v10
	s_and_saveexec_b64 s[4:5], vcc
; %bb.97:                               ;   in Loop: Header=BB0_61 Depth=1
	v_add_u32_e32 v3, -1, v10
	v_add_u32_e32 v18, 1, v1
	ds_write_b8 v1, v12
; %bb.98:                               ;   in Loop: Header=BB0_61 Depth=1
	s_or_b64 exec, exec, s[4:5]
	v_cmp_gt_i32_e32 vcc, s3, v14
	v_mov_b32_e32 v17, v14
	v_mov_b32_e32 v9, v10
	;; [unrolled: 1-line block ×4, first 2 shown]
	s_and_saveexec_b64 s[4:5], vcc
	s_cbranch_execz .LBB0_100
; %bb.99:                               ;   in Loop: Header=BB0_61 Depth=1
	v_add_u32_e32 v17, 8, v14
	v_mov_b32_e32 v9, 0
	s_or_b64 s[20:21], s[20:21], exec
	v_mov_b32_e32 v8, 0
	v_mov_b32_e32 v15, v18
	scratch_store_dwordx2 v16, v[2:3], off
.LBB0_100:                              ;   in Loop: Header=BB0_61 Depth=1
	s_or_b64 exec, exec, s[4:5]
.LBB0_101:                              ;   in Loop: Header=BB0_61 Depth=1
	s_branch .LBB0_115
.LBB0_102:                              ;   in Loop: Header=BB0_61 Depth=1
	v_cmp_ne_u32_e32 vcc, 0, v10
	v_mov_b32_e32 v9, v10
	v_mov_b32_e32 v8, v2
	v_mov_b32_e32 v15, v1
	s_and_saveexec_b64 s[4:5], vcc
	s_cbranch_execz .LBB0_114
; %bb.103:                              ;   in Loop: Header=BB0_61 Depth=1
	v_add_u32_e32 v9, -1, v10
	v_cmp_lt_i32_e32 vcc, 1, v10
	v_mov_b32_e32 v15, v1
	s_and_saveexec_b64 s[22:23], vcc
	s_cbranch_execz .LBB0_113
; %bb.104:                              ;   in Loop: Header=BB0_61 Depth=1
	v_cmp_lt_u32_e32 vcc, 8, v10
	s_mov_b64 s[26:27], -1
	v_mov_b32_e32 v15, v1
	s_and_saveexec_b64 s[24:25], vcc
	s_cbranch_execz .LBB0_108
; %bb.105:                              ;   in Loop: Header=BB0_61 Depth=1
	v_and_b32_e32 v3, -8, v9
	s_mov_b64 s[26:27], 0
	v_mov_b32_e32 v8, v1
	v_mov_b32_e32 v15, v3
.LBB0_106:                              ;   Parent Loop BB0_61 Depth=1
                                        ; =>  This Inner Loop Header: Depth=2
	v_add_u32_e32 v15, -8, v15
	v_cmp_eq_u32_e32 vcc, 0, v15
	ds_write_b64 v8, v[4:5]
	s_or_b64 s[26:27], vcc, s[26:27]
	v_add_u32_e32 v8, 8, v8
	s_andn2_b64 exec, exec, s[26:27]
	s_cbranch_execnz .LBB0_106
; %bb.107:                              ;   in Loop: Header=BB0_61 Depth=1
	s_or_b64 exec, exec, s[26:27]
	v_and_b32_e32 v8, 7, v9
	v_cmp_ne_u32_e32 vcc, v9, v3
	v_add_u32_e32 v15, v1, v3
	s_orn2_b64 s[26:27], vcc, exec
	v_mov_b32_e32 v9, v8
.LBB0_108:                              ;   in Loop: Header=BB0_61 Depth=1
	s_or_b64 exec, exec, s[24:25]
	s_and_saveexec_b64 s[24:25], s[26:27]
	s_cbranch_execz .LBB0_112
; %bb.109:                              ;   in Loop: Header=BB0_61 Depth=1
	v_add_u32_e32 v3, 1, v9
	s_mov_b64 s[26:27], 0
.LBB0_110:                              ;   Parent Loop BB0_61 Depth=1
                                        ; =>  This Inner Loop Header: Depth=2
	v_add_u32_e32 v3, -1, v3
	v_mov_b32_e32 v8, v15
	v_cmp_gt_u32_e32 vcc, 2, v3
	v_add_u32_e32 v15, 1, v8
	s_or_b64 s[26:27], vcc, s[26:27]
	ds_write_b8 v8, v12
	s_andn2_b64 exec, exec, s[26:27]
	s_cbranch_execnz .LBB0_110
; %bb.111:                              ;   in Loop: Header=BB0_61 Depth=1
	s_or_b64 exec, exec, s[26:27]
.LBB0_112:                              ;   in Loop: Header=BB0_61 Depth=1
	s_or_b64 exec, exec, s[24:25]
	v_mov_b32_e32 v9, 0
.LBB0_113:                              ;   in Loop: Header=BB0_61 Depth=1
	s_or_b64 exec, exec, s[22:23]
	v_add_u32_e32 v8, 1, v2
	s_or_b64 s[20:21], s[20:21], exec
.LBB0_114:                              ;   in Loop: Header=BB0_61 Depth=1
	s_or_b64 exec, exec, s[4:5]
	v_mov_b32_e32 v17, v14
.LBB0_115:                              ;   in Loop: Header=BB0_61 Depth=1
	s_mov_b64 s[4:5], 0
.LBB0_116:                              ;   in Loop: Header=BB0_61 Depth=1
	s_and_b64 vcc, exec, s[4:5]
	s_cbranch_vccz .LBB0_122
; %bb.117:                              ;   in Loop: Header=BB0_61 Depth=1
	s_and_b32 s4, 0xffff, s29
	s_cmp_gt_i32 s4, 0
	s_mov_b64 s[18:19], 0
	s_cbranch_scc0 .LBB0_121
; %bb.118:                              ;   in Loop: Header=BB0_61 Depth=1
	v_cmp_ne_u32_e32 vcc, 0, v10
	s_and_saveexec_b64 s[4:5], vcc
; %bb.119:                              ;   in Loop: Header=BB0_61 Depth=1
	v_add_u32_e32 v3, 1, v1
	v_mov_b32_e32 v8, s28
	ds_write_b8 v1, v8
	s_or_b64 s[20:21], s[20:21], exec
	v_mov_b32_e32 v1, v3
; %bb.120:                              ;   in Loop: Header=BB0_61 Depth=1
	s_or_b64 exec, exec, s[4:5]
	s_mov_b64 s[18:19], -1
.LBB0_121:                              ;   in Loop: Header=BB0_61 Depth=1
	v_mov_b32_e32 v17, v14
	s_mov_b64 s[4:5], -1
                                        ; implicit-def: $sgpr28
	s_and_saveexec_b64 s[22:23], s[20:21]
	s_cbranch_execz .LBB0_60
	s_branch .LBB0_123
.LBB0_122:                              ;   in Loop: Header=BB0_61 Depth=1
	v_mov_b32_e32 v14, v17
	v_mov_b32_e32 v10, v9
	;; [unrolled: 1-line block ×4, first 2 shown]
	s_mov_b64 s[4:5], -1
                                        ; implicit-def: $sgpr28
	s_and_saveexec_b64 s[22:23], s[20:21]
	s_cbranch_execz .LBB0_60
.LBB0_123:                              ;   in Loop: Header=BB0_61 Depth=1
	global_load_ubyte v3, v11, s[6:7] offset:1
	s_add_u32 s6, s6, 1
	v_mov_b32_e32 v14, v17
	s_addc_u32 s7, s7, 0
	s_xor_b64 s[4:5], exec, -1
	s_waitcnt vmcnt(0)
	v_readfirstlane_b32 s28, v3
	s_branch .LBB0_60
.LBB0_124:
	s_or_b64 exec, exec, s[14:15]
	s_xor_b64 s[4:5], s[16:17], -1
	s_and_saveexec_b64 s[6:7], s[4:5]
	s_xor_b64 s[4:5], exec, s[6:7]
	s_cbranch_execz .LBB0_148
; %bb.125:
	v_cmp_eq_u32_e32 vcc, 0, v17
	s_and_saveexec_b64 s[6:7], vcc
	s_cbranch_execz .LBB0_147
; %bb.126:
	v_cmp_lt_i32_e32 vcc, 1, v10
	s_and_saveexec_b64 s[14:15], vcc
	s_cbranch_execz .LBB0_136
; %bb.127:
	v_cmp_lt_u32_e32 vcc, 8, v10
	s_mov_b64 s[18:19], -1
	s_and_saveexec_b64 s[16:17], vcc
	s_cbranch_execz .LBB0_131
; %bb.128:
	v_add_u32_e32 v3, -1, v10
	v_and_b32_e32 v6, -8, v3
	v_mov_b32_e32 v4, 0x1b1b1b1b
	s_mov_b64 s[18:19], 0
	v_mov_b32_e32 v5, v4
	v_mov_b32_e32 v7, v1
	;; [unrolled: 1-line block ×3, first 2 shown]
.LBB0_129:                              ; =>This Inner Loop Header: Depth=1
	v_add_u32_e32 v8, -8, v8
	v_cmp_eq_u32_e32 vcc, 0, v8
	ds_write_b64 v7, v[4:5]
	s_or_b64 s[18:19], vcc, s[18:19]
	v_add_u32_e32 v7, 8, v7
	s_andn2_b64 exec, exec, s[18:19]
	s_cbranch_execnz .LBB0_129
; %bb.130:
	s_or_b64 exec, exec, s[18:19]
	v_cmp_ne_u32_e32 vcc, v3, v6
	v_sub_u32_e32 v10, v10, v6
	v_add_u32_e32 v1, v1, v6
	s_orn2_b64 s[18:19], vcc, exec
.LBB0_131:
	s_or_b64 exec, exec, s[16:17]
	s_and_saveexec_b64 s[16:17], s[18:19]
	s_cbranch_execz .LBB0_135
; %bb.132:
	v_add_u32_e32 v3, 1, v10
	s_mov_b64 s[18:19], 0
	v_mov_b32_e32 v4, 27
.LBB0_133:                              ; =>This Inner Loop Header: Depth=1
	v_add_u32_e32 v3, -1, v3
	v_mov_b32_e32 v5, v1
	v_cmp_gt_u32_e32 vcc, 3, v3
	v_add_u32_e32 v1, 1, v5
	s_or_b64 s[18:19], vcc, s[18:19]
	ds_write_b8 v5, v4
	s_andn2_b64 exec, exec, s[18:19]
	s_cbranch_execnz .LBB0_133
; %bb.134:
	s_or_b64 exec, exec, s[18:19]
.LBB0_135:
	s_or_b64 exec, exec, s[16:17]
.LBB0_136:
	s_or_b64 exec, exec, s[14:15]
	v_cmp_lt_i32_e32 vcc, 0, v2
	s_and_saveexec_b64 s[14:15], vcc
	s_cbranch_execz .LBB0_146
; %bb.137:
	v_cmp_lt_u32_e32 vcc, 7, v2
	s_mov_b64 s[18:19], -1
	s_and_saveexec_b64 s[16:17], vcc
	s_cbranch_execz .LBB0_141
; %bb.138:
	v_and_b32_e32 v3, 0x7ffffff8, v2
	v_mov_b32_e32 v4, 0x4040404
	s_mov_b64 s[18:19], 0
	v_mov_b32_e32 v5, v4
	v_mov_b32_e32 v6, v1
	;; [unrolled: 1-line block ×3, first 2 shown]
.LBB0_139:                              ; =>This Inner Loop Header: Depth=1
	v_add_u32_e32 v7, -8, v7
	v_cmp_eq_u32_e32 vcc, 0, v7
	ds_write_b64 v6, v[4:5]
	s_or_b64 s[18:19], vcc, s[18:19]
	v_add_u32_e32 v6, 8, v6
	s_andn2_b64 exec, exec, s[18:19]
	s_cbranch_execnz .LBB0_139
; %bb.140:
	s_or_b64 exec, exec, s[18:19]
	v_and_b32_e32 v4, 7, v2
	v_cmp_ne_u32_e32 vcc, v2, v3
	v_add_u32_e32 v1, v1, v3
	s_orn2_b64 s[18:19], vcc, exec
	v_mov_b32_e32 v2, v4
.LBB0_141:
	s_or_b64 exec, exec, s[16:17]
	s_and_saveexec_b64 s[16:17], s[18:19]
	s_cbranch_execz .LBB0_145
; %bb.142:
	v_add_u32_e32 v2, 1, v2
	s_mov_b64 s[18:19], 0
	v_mov_b32_e32 v3, 4
.LBB0_143:                              ; =>This Inner Loop Header: Depth=1
	v_add_u32_e32 v2, -1, v2
	v_mov_b32_e32 v4, v1
	v_cmp_gt_u32_e32 vcc, 2, v2
	v_add_u32_e32 v1, 1, v4
	s_or_b64 s[18:19], vcc, s[18:19]
	ds_write_b8 v4, v3
	s_andn2_b64 exec, exec, s[18:19]
	s_cbranch_execnz .LBB0_143
; %bb.144:
	s_or_b64 exec, exec, s[18:19]
.LBB0_145:
	s_or_b64 exec, exec, s[16:17]
.LBB0_146:
	s_or_b64 exec, exec, s[14:15]
	v_mov_b32_e32 v2, 0
	ds_write_b8 v1, v2
.LBB0_147:
	s_or_b64 exec, exec, s[6:7]
.LBB0_148:
	s_or_b64 exec, exec, s[4:5]
	s_branch .LBB0_6
; %bb.149:
	v_mov_b64_e32 v[2:3], 0
.LBB0_150:
	v_mov_b32_e32 v1, 0
	ds_write_b64 v1, v[2:3] offset:12000
.LBB0_151:
	s_or_b64 exec, exec, s[12:13]
	s_waitcnt lgkmcnt(0)
	s_barrier
	s_load_dword s3, s[0:1], 0x44
	s_load_dword s24, s[0:1], 0x10
	s_add_u32 s10, s0, 56
	s_addc_u32 s11, s1, 0
	s_waitcnt lgkmcnt(0)
	s_and_b32 s3, s3, 0xffff
	s_mul_i32 s2, s2, s3
	v_add_u32_e32 v0, s2, v0
	v_cmp_gt_i32_e32 vcc, s24, v0
	s_and_saveexec_b64 s[4:5], vcc
	s_cbranch_execz .LBB0_185
; %bb.152:
	v_mov_b32_e32 v3, 0
	s_load_dword s25, s[10:11], 0x0
	s_load_dwordx4 s[4:7], s[0:1], 0x0
	ds_read_b64 v[4:5], v3 offset:12000
	s_mov_b64 s[0:1], 0
	v_mov_b32_e32 v10, 16
	s_waitcnt lgkmcnt(0)
	s_mul_i32 s25, s25, s3
	s_movk_i32 s26, 0x101
	s_movk_i32 s27, 0x102
	;; [unrolled: 1-line block ×3, first 2 shown]
	v_mov_b32_e32 v11, 0x3e90
	s_branch .LBB0_155
.LBB0_153:                              ;   in Loop: Header=BB0_155 Depth=1
	s_or_b64 exec, exec, s[10:11]
.LBB0_154:                              ;   in Loop: Header=BB0_155 Depth=1
	s_or_b64 exec, exec, s[2:3]
	v_lshl_add_u64 v[6:7], s[8:9], 0, v[0:1]
	v_add_u32_e32 v0, s25, v0
	v_cmp_le_i32_e32 vcc, s24, v0
	s_or_b64 s[0:1], vcc, s[0:1]
	global_store_byte v[6:7], v2, off
	s_andn2_b64 exec, exec, s[0:1]
	s_cbranch_execz .LBB0_185
.LBB0_155:                              ; =>This Loop Header: Depth=1
                                        ;     Child Loop BB0_158 Depth 2
                                        ;     Child Loop BB0_166 Depth 2
                                        ;       Child Loop BB0_170 Depth 3
                                        ;         Child Loop BB0_174 Depth 4
                                        ;     Child Loop BB0_183 Depth 2
	v_ashrrev_i32_e32 v1, 31, v0
	v_lshl_add_u64 v[6:7], v[0:1], 2, s[6:7]
	global_load_dword v2, v[6:7], off
	v_mov_b32_e32 v13, 1
	s_mov_b64 s[2:3], 0
	v_mov_b32_e32 v9, 0
	v_mov_b32_e32 v8, 0
	scratch_store_dwordx2 off, v[4:5], off offset:16
	s_branch .LBB0_158
.LBB0_156:                              ;   in Loop: Header=BB0_158 Depth=2
	s_or_b64 exec, exec, s[12:13]
	v_mov_b32_e32 v9, v15
.LBB0_157:                              ;   in Loop: Header=BB0_158 Depth=2
	s_or_b64 exec, exec, s[10:11]
	v_cmp_eq_u32_e32 vcc, 0, v12
	s_or_b64 s[2:3], vcc, s[2:3]
	v_mov_b32_e32 v13, v12
	s_andn2_b64 exec, exec, s[2:3]
	s_cbranch_execz .LBB0_163
.LBB0_158:                              ;   Parent Loop BB0_155 Depth=1
                                        ; =>  This Inner Loop Header: Depth=2
	v_add_u32_e32 v12, -1, v13
	v_lshl_add_u32 v14, v12, 3, v10
	scratch_load_dwordx2 v[6:7], v14, off
	s_waitcnt vmcnt(0)
	v_cmp_ne_u64_e32 vcc, 0, v[6:7]
	s_and_saveexec_b64 s[10:11], vcc
	s_cbranch_execz .LBB0_157
; %bb.159:                              ;   in Loop: Header=BB0_158 Depth=2
	flat_load_dword v15, v[6:7]
	s_waitcnt vmcnt(0) lgkmcnt(0)
	v_cmp_ne_u32_e32 vcc, s26, v15
	s_and_saveexec_b64 s[12:13], vcc
	s_xor_b64 s[12:13], exec, s[12:13]
	s_cbranch_execz .LBB0_161
; %bb.160:                              ;   in Loop: Header=BB0_158 Depth=2
	v_add_u32_e32 v9, 1, v8
	v_lshl_add_u32 v8, v8, 3, v11
	scratch_store_dwordx2 v8, v[6:7], off
	v_mov_b32_e32 v8, v9
                                        ; implicit-def: $vgpr6_vgpr7
                                        ; implicit-def: $vgpr13
                                        ; implicit-def: $vgpr14
                                        ; implicit-def: $vgpr9
.LBB0_161:                              ;   in Loop: Header=BB0_158 Depth=2
	s_or_saveexec_b64 s[12:13], s[12:13]
	v_mov_b32_e32 v15, v8
	s_xor_b64 exec, exec, s[12:13]
	s_cbranch_execz .LBB0_156
; %bb.162:                              ;   in Loop: Header=BB0_158 Depth=2
	flat_load_dwordx4 v[16:19], v[6:7] offset:8
	v_add_u32_e32 v12, 1, v13
	v_mov_b32_e32 v15, v9
	s_waitcnt vmcnt(0) lgkmcnt(0)
	scratch_store_dwordx4 v14, v[16:19], off
	s_branch .LBB0_156
.LBB0_163:                              ;   in Loop: Header=BB0_155 Depth=1
	s_or_b64 exec, exec, s[2:3]
	global_load_ubyte v12, v2, s[4:5]
	s_movk_i32 s2, 0x3e90
	scratch_store_dword off, v9, s2 offset:800
	s_movk_i32 s29, 0x3e90
	v_mov_b32_e32 v9, 0x3e90
	s_waitcnt vmcnt(1)
	v_cmp_ne_u16_e32 vcc, 0, v12
	s_and_saveexec_b64 s[2:3], vcc
	s_cbranch_execz .LBB0_180
; %bb.164:                              ;   in Loop: Header=BB0_155 Depth=1
	v_lshl_add_u64 v[6:7], s[4:5], 0, v[2:3]
	s_movk_i32 s12, 0x41b8
	s_mov_b64 s[10:11], 0
	s_branch .LBB0_166
.LBB0_165:                              ;   in Loop: Header=BB0_166 Depth=2
	s_or_b64 exec, exec, s[12:13]
	global_load_ubyte v12, v[6:7], off offset:1
	v_lshl_add_u64 v[6:7], v[6:7], 0, 1
	v_mov_b32_e32 v9, s30
	s_mov_b32 s12, s29
	s_mov_b32 s29, s30
	s_waitcnt vmcnt(0)
	v_cmp_eq_u16_e32 vcc, 0, v12
	s_or_b64 s[10:11], vcc, s[10:11]
	s_andn2_b64 exec, exec, s[10:11]
	s_cbranch_execz .LBB0_179
.LBB0_166:                              ;   Parent Loop BB0_155 Depth=1
                                        ; =>  This Loop Header: Depth=2
                                        ;       Child Loop BB0_170 Depth 3
                                        ;         Child Loop BB0_174 Depth 4
	scratch_load_dword v13, off, s29 offset:800
	s_mov_b32 s30, s12
	scratch_store_dword off, v3, s12 offset:800
	s_waitcnt vmcnt(1)
	v_cmp_lt_i32_e32 vcc, 0, v13
	s_and_saveexec_b64 s[12:13], vcc
	s_cbranch_execz .LBB0_165
; %bb.167:                              ;   in Loop: Header=BB0_166 Depth=2
	v_mov_b32_e32 v2, 0
	s_mov_b64 s[14:15], 0
	s_mov_b32 s31, 0
	s_branch .LBB0_170
.LBB0_168:                              ;   in Loop: Header=BB0_170 Depth=3
	s_or_b64 exec, exec, s[18:19]
	scratch_load_dword v13, off, s29 offset:800
.LBB0_169:                              ;   in Loop: Header=BB0_170 Depth=3
	s_or_b64 exec, exec, s[16:17]
	s_add_i32 s31, s31, 1
	s_waitcnt vmcnt(0)
	v_cmp_ge_i32_e32 vcc, s31, v13
	s_or_b64 s[14:15], vcc, s[14:15]
	s_andn2_b64 exec, exec, s[14:15]
	s_cbranch_execz .LBB0_165
.LBB0_170:                              ;   Parent Loop BB0_155 Depth=1
                                        ;     Parent Loop BB0_166 Depth=2
                                        ; =>    This Loop Header: Depth=3
                                        ;         Child Loop BB0_174 Depth 4
	s_lshl_b32 s16, s31, 3
	s_add_i32 s16, s29, s16
	scratch_load_dwordx2 v[8:9], off, s16
	s_waitcnt vmcnt(0)
	flat_load_dword v14, v[8:9]
	s_waitcnt vmcnt(0) lgkmcnt(0)
	v_cmp_eq_u32_sdwa s[16:17], v14, v12 src0_sel:DWORD src1_sel:BYTE_0
	v_cmp_eq_u32_e32 vcc, s27, v14
	s_or_b64 s[18:19], s[16:17], vcc
	s_and_saveexec_b64 s[16:17], s[18:19]
	s_cbranch_execz .LBB0_169
; %bb.171:                              ;   in Loop: Header=BB0_170 Depth=3
	flat_load_dwordx2 v[8:9], v[8:9] offset:8
	v_mov_b32_e32 v14, 1
	s_mov_b64 s[18:19], 0
	s_waitcnt vmcnt(0) lgkmcnt(0)
	scratch_store_dwordx2 off, v[8:9], off offset:16
	s_branch .LBB0_174
.LBB0_172:                              ;   in Loop: Header=BB0_174 Depth=4
	s_or_b64 exec, exec, s[22:23]
.LBB0_173:                              ;   in Loop: Header=BB0_174 Depth=4
	s_or_b64 exec, exec, s[20:21]
	v_cmp_eq_u32_e32 vcc, 0, v13
	s_or_b64 s[18:19], vcc, s[18:19]
	v_mov_b32_e32 v14, v13
	s_andn2_b64 exec, exec, s[18:19]
	s_cbranch_execz .LBB0_168
.LBB0_174:                              ;   Parent Loop BB0_155 Depth=1
                                        ;     Parent Loop BB0_166 Depth=2
                                        ;       Parent Loop BB0_170 Depth=3
                                        ; =>      This Inner Loop Header: Depth=4
	v_add_u32_e32 v13, -1, v14
	v_lshl_add_u32 v15, v13, 3, v10
	scratch_load_dwordx2 v[8:9], v15, off
	s_waitcnt vmcnt(0)
	v_cmp_ne_u64_e32 vcc, 0, v[8:9]
	s_and_saveexec_b64 s[20:21], vcc
	s_cbranch_execz .LBB0_173
; %bb.175:                              ;   in Loop: Header=BB0_174 Depth=4
	flat_load_dword v16, v[8:9]
	s_waitcnt vmcnt(0) lgkmcnt(0)
	v_cmp_ne_u32_e32 vcc, s26, v16
	s_and_saveexec_b64 s[22:23], vcc
	s_xor_b64 s[22:23], exec, s[22:23]
	s_cbranch_execz .LBB0_177
; %bb.176:                              ;   in Loop: Header=BB0_174 Depth=4
	v_add_u32_e32 v14, 1, v2
	v_lshl_add_u32 v2, v2, 3, s30
	scratch_store_dword off, v14, s30 offset:800
	scratch_store_dwordx2 v2, v[8:9], off
	v_mov_b32_e32 v2, v14
                                        ; implicit-def: $vgpr8_vgpr9
                                        ; implicit-def: $vgpr14
                                        ; implicit-def: $vgpr15
.LBB0_177:                              ;   in Loop: Header=BB0_174 Depth=4
	s_andn2_saveexec_b64 s[22:23], s[22:23]
	s_cbranch_execz .LBB0_172
; %bb.178:                              ;   in Loop: Header=BB0_174 Depth=4
	flat_load_dwordx4 v[16:19], v[8:9] offset:8
	v_add_u32_e32 v13, 1, v14
	s_waitcnt vmcnt(0) lgkmcnt(0)
	scratch_store_dwordx4 v15, v[16:19], off
	s_branch .LBB0_172
.LBB0_179:                              ;   in Loop: Header=BB0_155 Depth=1
	s_or_b64 exec, exec, s[10:11]
	scratch_load_dword v8, v9, off offset:800
.LBB0_180:                              ;   in Loop: Header=BB0_155 Depth=1
	s_or_b64 exec, exec, s[2:3]
	s_waitcnt vmcnt(0)
	v_cmp_lt_i32_e32 vcc, 0, v8
	v_mov_b32_e32 v2, 0
	s_and_saveexec_b64 s[2:3], vcc
	s_cbranch_execz .LBB0_154
; %bb.181:                              ;   in Loop: Header=BB0_155 Depth=1
	s_mov_b64 s[10:11], 0
                                        ; implicit-def: $sgpr12_sgpr13
	s_branch .LBB0_183
.LBB0_182:                              ;   in Loop: Header=BB0_183 Depth=2
	s_or_b64 exec, exec, s[14:15]
	s_and_b64 s[14:15], exec, s[12:13]
	s_or_b64 s[10:11], s[14:15], s[10:11]
	s_andn2_b64 exec, exec, s[10:11]
	s_cbranch_execz .LBB0_153
.LBB0_183:                              ;   Parent Loop BB0_155 Depth=1
                                        ; =>  This Inner Loop Header: Depth=2
	scratch_load_dwordx2 v[6:7], v9, off
	v_mov_b32_e32 v2, 1
	s_or_b64 s[12:13], s[12:13], exec
	s_waitcnt vmcnt(0)
	flat_load_dword v6, v[6:7]
	s_waitcnt vmcnt(0) lgkmcnt(0)
	v_cmp_ne_u32_e32 vcc, s28, v6
	s_and_saveexec_b64 s[14:15], vcc
	s_cbranch_execz .LBB0_182
; %bb.184:                              ;   in Loop: Header=BB0_183 Depth=2
	v_add_u32_e32 v8, -1, v8
	v_cmp_eq_u32_e32 vcc, 0, v8
	s_andn2_b64 s[12:13], s[12:13], exec
	s_and_b64 s[16:17], vcc, exec
	v_add_u32_e32 v9, 8, v9
	v_mov_b32_e32 v2, 0
	s_or_b64 s[12:13], s[12:13], s[16:17]
	s_branch .LBB0_182
.LBB0_185:
	s_endpgm
	.section	.rodata,"a",@progbits
	.p2align	6, 0x0
	.amdhsa_kernel _Z13parallelMatchPcPKjiS_S1_PhP5State
		.amdhsa_group_segment_fixed_size 12008
		.amdhsa_private_segment_fixed_size 17632
		.amdhsa_kernarg_size 312
		.amdhsa_user_sgpr_count 2
		.amdhsa_user_sgpr_dispatch_ptr 0
		.amdhsa_user_sgpr_queue_ptr 0
		.amdhsa_user_sgpr_kernarg_segment_ptr 1
		.amdhsa_user_sgpr_dispatch_id 0
		.amdhsa_user_sgpr_kernarg_preload_length 0
		.amdhsa_user_sgpr_kernarg_preload_offset 0
		.amdhsa_user_sgpr_private_segment_size 0
		.amdhsa_uses_dynamic_stack 0
		.amdhsa_enable_private_segment 1
		.amdhsa_system_sgpr_workgroup_id_x 1
		.amdhsa_system_sgpr_workgroup_id_y 0
		.amdhsa_system_sgpr_workgroup_id_z 0
		.amdhsa_system_sgpr_workgroup_info 0
		.amdhsa_system_vgpr_workitem_id 0
		.amdhsa_next_free_vgpr 20
		.amdhsa_next_free_sgpr 32
		.amdhsa_accum_offset 20
		.amdhsa_reserve_vcc 1
		.amdhsa_float_round_mode_32 0
		.amdhsa_float_round_mode_16_64 0
		.amdhsa_float_denorm_mode_32 3
		.amdhsa_float_denorm_mode_16_64 3
		.amdhsa_dx10_clamp 1
		.amdhsa_ieee_mode 1
		.amdhsa_fp16_overflow 0
		.amdhsa_tg_split 0
		.amdhsa_exception_fp_ieee_invalid_op 0
		.amdhsa_exception_fp_denorm_src 0
		.amdhsa_exception_fp_ieee_div_zero 0
		.amdhsa_exception_fp_ieee_overflow 0
		.amdhsa_exception_fp_ieee_underflow 0
		.amdhsa_exception_fp_ieee_inexact 0
		.amdhsa_exception_int_div_zero 0
	.end_amdhsa_kernel
	.text
.Lfunc_end0:
	.size	_Z13parallelMatchPcPKjiS_S1_PhP5State, .Lfunc_end0-_Z13parallelMatchPcPKjiS_S1_PhP5State
                                        ; -- End function
	.set _Z13parallelMatchPcPKjiS_S1_PhP5State.num_vgpr, 20
	.set _Z13parallelMatchPcPKjiS_S1_PhP5State.num_agpr, 0
	.set _Z13parallelMatchPcPKjiS_S1_PhP5State.numbered_sgpr, 32
	.set _Z13parallelMatchPcPKjiS_S1_PhP5State.num_named_barrier, 0
	.set _Z13parallelMatchPcPKjiS_S1_PhP5State.private_seg_size, 17632
	.set _Z13parallelMatchPcPKjiS_S1_PhP5State.uses_vcc, 1
	.set _Z13parallelMatchPcPKjiS_S1_PhP5State.uses_flat_scratch, 0
	.set _Z13parallelMatchPcPKjiS_S1_PhP5State.has_dyn_sized_stack, 0
	.set _Z13parallelMatchPcPKjiS_S1_PhP5State.has_recursion, 0
	.set _Z13parallelMatchPcPKjiS_S1_PhP5State.has_indirect_call, 0
	.section	.AMDGPU.csdata,"",@progbits
; Kernel info:
; codeLenInByte = 4420
; TotalNumSgprs: 38
; NumVgprs: 20
; NumAgprs: 0
; TotalNumVgprs: 20
; ScratchSize: 17632
; MemoryBound: 0
; FloatMode: 240
; IeeeMode: 1
; LDSByteSize: 12008 bytes/workgroup (compile time only)
; SGPRBlocks: 4
; VGPRBlocks: 2
; NumSGPRsForWavesPerEU: 38
; NumVGPRsForWavesPerEU: 20
; AccumOffset: 20
; Occupancy: 8
; WaveLimiterHint : 1
; COMPUTE_PGM_RSRC2:SCRATCH_EN: 1
; COMPUTE_PGM_RSRC2:USER_SGPR: 2
; COMPUTE_PGM_RSRC2:TRAP_HANDLER: 0
; COMPUTE_PGM_RSRC2:TGID_X_EN: 1
; COMPUTE_PGM_RSRC2:TGID_Y_EN: 0
; COMPUTE_PGM_RSRC2:TGID_Z_EN: 0
; COMPUTE_PGM_RSRC2:TIDIG_COMP_CNT: 0
; COMPUTE_PGM_RSRC3_GFX90A:ACCUM_OFFSET: 4
; COMPUTE_PGM_RSRC3_GFX90A:TG_SPLIT: 0
	.text
	.p2alignl 6, 3212836864
	.fill 256, 4, 3212836864
	.section	.AMDGPU.gpr_maximums,"",@progbits
	.set amdgpu.max_num_vgpr, 0
	.set amdgpu.max_num_agpr, 0
	.set amdgpu.max_num_sgpr, 0
	.text
	.type	__hip_cuid_6be271d261bf421e,@object ; @__hip_cuid_6be271d261bf421e
	.section	.bss,"aw",@nobits
	.globl	__hip_cuid_6be271d261bf421e
__hip_cuid_6be271d261bf421e:
	.byte	0                               ; 0x0
	.size	__hip_cuid_6be271d261bf421e, 1

	.ident	"AMD clang version 22.0.0git (https://github.com/RadeonOpenCompute/llvm-project roc-7.2.4 26084 f58b06dce1f9c15707c5f808fd002e18c2accf7e)"
	.section	".note.GNU-stack","",@progbits
	.addrsig
	.addrsig_sym __hip_cuid_6be271d261bf421e
	.amdgpu_metadata
---
amdhsa.kernels:
  - .agpr_count:     0
    .args:
      - .address_space:  global
        .offset:         0
        .size:           8
        .value_kind:     global_buffer
      - .address_space:  global
        .offset:         8
        .size:           8
        .value_kind:     global_buffer
      - .offset:         16
        .size:           4
        .value_kind:     by_value
      - .address_space:  global
        .offset:         24
        .size:           8
        .value_kind:     global_buffer
      - .address_space:  global
        .offset:         32
        .size:           8
        .value_kind:     global_buffer
      - .address_space:  global
        .offset:         40
        .size:           8
        .value_kind:     global_buffer
      - .address_space:  global
        .offset:         48
        .size:           8
        .value_kind:     global_buffer
      - .offset:         56
        .size:           4
        .value_kind:     hidden_block_count_x
      - .offset:         60
        .size:           4
        .value_kind:     hidden_block_count_y
      - .offset:         64
        .size:           4
        .value_kind:     hidden_block_count_z
      - .offset:         68
        .size:           2
        .value_kind:     hidden_group_size_x
      - .offset:         70
        .size:           2
        .value_kind:     hidden_group_size_y
      - .offset:         72
        .size:           2
        .value_kind:     hidden_group_size_z
      - .offset:         74
        .size:           2
        .value_kind:     hidden_remainder_x
      - .offset:         76
        .size:           2
        .value_kind:     hidden_remainder_y
      - .offset:         78
        .size:           2
        .value_kind:     hidden_remainder_z
      - .offset:         96
        .size:           8
        .value_kind:     hidden_global_offset_x
      - .offset:         104
        .size:           8
        .value_kind:     hidden_global_offset_y
      - .offset:         112
        .size:           8
        .value_kind:     hidden_global_offset_z
      - .offset:         120
        .size:           2
        .value_kind:     hidden_grid_dims
    .group_segment_fixed_size: 12008
    .kernarg_segment_align: 8
    .kernarg_segment_size: 312
    .language:       OpenCL C
    .language_version:
      - 2
      - 0
    .max_flat_workgroup_size: 1024
    .name:           _Z13parallelMatchPcPKjiS_S1_PhP5State
    .private_segment_fixed_size: 17632
    .sgpr_count:     38
    .sgpr_spill_count: 0
    .symbol:         _Z13parallelMatchPcPKjiS_S1_PhP5State.kd
    .uniform_work_group_size: 1
    .uses_dynamic_stack: false
    .vgpr_count:     20
    .vgpr_spill_count: 0
    .wavefront_size: 64
amdhsa.target:   amdgcn-amd-amdhsa--gfx950
amdhsa.version:
  - 1
  - 2
...

	.end_amdgpu_metadata
